;; amdgpu-corpus repo=ROCm/rocFFT kind=compiled arch=gfx950 opt=O3
	.text
	.amdgcn_target "amdgcn-amd-amdhsa--gfx950"
	.amdhsa_code_object_version 6
	.protected	fft_rtc_back_len121_factors_11_11_wgs_121_tpt_11_halfLds_sp_ip_CI_sbrr_dirReg ; -- Begin function fft_rtc_back_len121_factors_11_11_wgs_121_tpt_11_halfLds_sp_ip_CI_sbrr_dirReg
	.globl	fft_rtc_back_len121_factors_11_11_wgs_121_tpt_11_halfLds_sp_ip_CI_sbrr_dirReg
	.p2align	8
	.type	fft_rtc_back_len121_factors_11_11_wgs_121_tpt_11_halfLds_sp_ip_CI_sbrr_dirReg,@function
fft_rtc_back_len121_factors_11_11_wgs_121_tpt_11_halfLds_sp_ip_CI_sbrr_dirReg: ; @fft_rtc_back_len121_factors_11_11_wgs_121_tpt_11_halfLds_sp_ip_CI_sbrr_dirReg
; %bb.0:
	s_load_dwordx2 s[12:13], s[0:1], 0x18
	s_load_dwordx4 s[4:7], s[0:1], 0x0
	s_load_dwordx2 s[10:11], s[0:1], 0x50
	v_mul_u32_u24_e32 v1, 0x1746, v0
	v_lshrrev_b32_e32 v2, 16, v1
	s_waitcnt lgkmcnt(0)
	s_load_dwordx2 s[8:9], s[12:13], 0x0
	v_mad_u64_u32 v[22:23], s[2:3], s2, 11, v[2:3]
	v_mov_b32_e32 v4, 0
	v_mov_b32_e32 v23, v4
	v_cmp_lt_u64_e64 s[2:3], s[6:7], 2
	s_and_b64 vcc, exec, s[2:3]
	v_mov_b64_e32 v[2:3], 0
	v_mov_b64_e32 v[8:9], v[22:23]
	s_cbranch_vccnz .LBB0_8
; %bb.1:
	s_load_dwordx2 s[2:3], s[0:1], 0x10
	s_add_u32 s14, s12, 8
	s_addc_u32 s15, s13, 0
	s_mov_b64 s[16:17], 1
	v_mov_b64_e32 v[2:3], 0
	s_waitcnt lgkmcnt(0)
	s_add_u32 s18, s2, 8
	s_addc_u32 s19, s3, 0
	v_mov_b64_e32 v[6:7], v[22:23]
.LBB0_2:                                ; =>This Inner Loop Header: Depth=1
	s_load_dwordx2 s[20:21], s[18:19], 0x0
                                        ; implicit-def: $vgpr8_vgpr9
	s_waitcnt lgkmcnt(0)
	v_or_b32_e32 v5, s21, v7
	v_cmp_ne_u64_e32 vcc, 0, v[4:5]
	s_and_saveexec_b64 s[2:3], vcc
	s_xor_b64 s[22:23], exec, s[2:3]
	s_cbranch_execz .LBB0_4
; %bb.3:                                ;   in Loop: Header=BB0_2 Depth=1
	v_cvt_f32_u32_e32 v1, s20
	v_cvt_f32_u32_e32 v5, s21
	s_sub_u32 s2, 0, s20
	s_subb_u32 s3, 0, s21
	v_fmac_f32_e32 v1, 0x4f800000, v5
	v_rcp_f32_e32 v1, v1
	s_nop 0
	v_mul_f32_e32 v1, 0x5f7ffffc, v1
	v_mul_f32_e32 v5, 0x2f800000, v1
	v_trunc_f32_e32 v5, v5
	v_fmac_f32_e32 v1, 0xcf800000, v5
	v_cvt_u32_f32_e32 v5, v5
	v_cvt_u32_f32_e32 v1, v1
	v_mul_lo_u32 v8, s2, v5
	v_mul_hi_u32 v10, s2, v1
	v_mul_lo_u32 v9, s3, v1
	v_add_u32_e32 v10, v10, v8
	v_mul_lo_u32 v12, s2, v1
	v_add_u32_e32 v13, v10, v9
	v_mul_hi_u32 v8, v1, v12
	v_mul_hi_u32 v11, v1, v13
	v_mul_lo_u32 v10, v1, v13
	v_mov_b32_e32 v9, v4
	v_lshl_add_u64 v[8:9], v[8:9], 0, v[10:11]
	v_mul_hi_u32 v11, v5, v12
	v_mul_lo_u32 v12, v5, v12
	v_add_co_u32_e32 v8, vcc, v8, v12
	v_mul_hi_u32 v10, v5, v13
	s_nop 0
	v_addc_co_u32_e32 v8, vcc, v9, v11, vcc
	v_mov_b32_e32 v9, v4
	s_nop 0
	v_addc_co_u32_e32 v11, vcc, 0, v10, vcc
	v_mul_lo_u32 v10, v5, v13
	v_lshl_add_u64 v[8:9], v[8:9], 0, v[10:11]
	v_add_co_u32_e32 v1, vcc, v1, v8
	v_mul_lo_u32 v10, s2, v1
	s_nop 0
	v_addc_co_u32_e32 v5, vcc, v5, v9, vcc
	v_mul_lo_u32 v8, s2, v5
	v_mul_hi_u32 v9, s2, v1
	v_add_u32_e32 v8, v9, v8
	v_mul_lo_u32 v9, s3, v1
	v_add_u32_e32 v12, v8, v9
	v_mul_hi_u32 v14, v5, v10
	v_mul_lo_u32 v15, v5, v10
	v_mul_hi_u32 v9, v1, v12
	v_mul_lo_u32 v8, v1, v12
	v_mul_hi_u32 v10, v1, v10
	v_mov_b32_e32 v11, v4
	v_lshl_add_u64 v[8:9], v[10:11], 0, v[8:9]
	v_add_co_u32_e32 v8, vcc, v8, v15
	v_mul_hi_u32 v13, v5, v12
	s_nop 0
	v_addc_co_u32_e32 v8, vcc, v9, v14, vcc
	v_mul_lo_u32 v10, v5, v12
	s_nop 0
	v_addc_co_u32_e32 v11, vcc, 0, v13, vcc
	v_mov_b32_e32 v9, v4
	v_lshl_add_u64 v[8:9], v[8:9], 0, v[10:11]
	v_add_co_u32_e32 v1, vcc, v1, v8
	v_mul_hi_u32 v10, v6, v1
	s_nop 0
	v_addc_co_u32_e32 v5, vcc, v5, v9, vcc
	v_mad_u64_u32 v[8:9], s[2:3], v6, v5, 0
	v_mov_b32_e32 v11, v4
	v_lshl_add_u64 v[8:9], v[10:11], 0, v[8:9]
	v_mad_u64_u32 v[12:13], s[2:3], v7, v1, 0
	v_add_co_u32_e32 v1, vcc, v8, v12
	v_mad_u64_u32 v[10:11], s[2:3], v7, v5, 0
	s_nop 0
	v_addc_co_u32_e32 v8, vcc, v9, v13, vcc
	v_mov_b32_e32 v9, v4
	s_nop 0
	v_addc_co_u32_e32 v11, vcc, 0, v11, vcc
	v_lshl_add_u64 v[8:9], v[8:9], 0, v[10:11]
	v_mul_lo_u32 v1, s21, v8
	v_mul_lo_u32 v5, s20, v9
	v_mad_u64_u32 v[10:11], s[2:3], s20, v8, 0
	v_add3_u32 v1, v11, v5, v1
	v_sub_u32_e32 v5, v7, v1
	v_mov_b32_e32 v11, s21
	v_sub_co_u32_e32 v14, vcc, v6, v10
	v_lshl_add_u64 v[12:13], v[8:9], 0, 1
	s_nop 0
	v_subb_co_u32_e64 v5, s[2:3], v5, v11, vcc
	v_subrev_co_u32_e64 v10, s[2:3], s20, v14
	v_subb_co_u32_e32 v1, vcc, v7, v1, vcc
	s_nop 0
	v_subbrev_co_u32_e64 v5, s[2:3], 0, v5, s[2:3]
	v_cmp_le_u32_e64 s[2:3], s21, v5
	v_cmp_le_u32_e32 vcc, s21, v1
	s_nop 0
	v_cndmask_b32_e64 v11, 0, -1, s[2:3]
	v_cmp_le_u32_e64 s[2:3], s20, v10
	s_nop 1
	v_cndmask_b32_e64 v10, 0, -1, s[2:3]
	v_cmp_eq_u32_e64 s[2:3], s21, v5
	s_nop 1
	v_cndmask_b32_e64 v5, v11, v10, s[2:3]
	v_lshl_add_u64 v[10:11], v[8:9], 0, 2
	v_cmp_ne_u32_e64 s[2:3], 0, v5
	s_nop 1
	v_cndmask_b32_e64 v5, v13, v11, s[2:3]
	v_cndmask_b32_e64 v11, 0, -1, vcc
	v_cmp_le_u32_e32 vcc, s20, v14
	s_nop 1
	v_cndmask_b32_e64 v13, 0, -1, vcc
	v_cmp_eq_u32_e32 vcc, s21, v1
	s_nop 1
	v_cndmask_b32_e32 v1, v11, v13, vcc
	v_cmp_ne_u32_e32 vcc, 0, v1
	v_cndmask_b32_e64 v1, v12, v10, s[2:3]
	s_nop 0
	v_cndmask_b32_e32 v9, v9, v5, vcc
	v_cndmask_b32_e32 v8, v8, v1, vcc
.LBB0_4:                                ;   in Loop: Header=BB0_2 Depth=1
	s_andn2_saveexec_b64 s[2:3], s[22:23]
	s_cbranch_execz .LBB0_6
; %bb.5:                                ;   in Loop: Header=BB0_2 Depth=1
	v_cvt_f32_u32_e32 v1, s20
	s_sub_i32 s22, 0, s20
	v_rcp_iflag_f32_e32 v1, v1
	s_nop 0
	v_mul_f32_e32 v1, 0x4f7ffffe, v1
	v_cvt_u32_f32_e32 v1, v1
	v_mul_lo_u32 v5, s22, v1
	v_mul_hi_u32 v5, v1, v5
	v_add_u32_e32 v1, v1, v5
	v_mul_hi_u32 v1, v6, v1
	v_mul_lo_u32 v5, v1, s20
	v_sub_u32_e32 v5, v6, v5
	v_add_u32_e32 v8, 1, v1
	v_subrev_u32_e32 v9, s20, v5
	v_cmp_le_u32_e32 vcc, s20, v5
	s_nop 1
	v_cndmask_b32_e32 v5, v5, v9, vcc
	v_cndmask_b32_e32 v1, v1, v8, vcc
	v_add_u32_e32 v8, 1, v1
	v_cmp_le_u32_e32 vcc, s20, v5
	v_mov_b32_e32 v9, v4
	s_nop 0
	v_cndmask_b32_e32 v8, v1, v8, vcc
.LBB0_6:                                ;   in Loop: Header=BB0_2 Depth=1
	s_or_b64 exec, exec, s[2:3]
	v_mad_u64_u32 v[10:11], s[2:3], v8, s20, 0
	s_load_dwordx2 s[2:3], s[14:15], 0x0
	v_mul_lo_u32 v1, v9, s20
	v_mul_lo_u32 v5, v8, s21
	v_add3_u32 v1, v11, v5, v1
	v_sub_co_u32_e32 v5, vcc, v6, v10
	s_add_u32 s16, s16, 1
	s_nop 0
	v_subb_co_u32_e32 v1, vcc, v7, v1, vcc
	s_addc_u32 s17, s17, 0
	s_waitcnt lgkmcnt(0)
	v_mul_lo_u32 v1, s2, v1
	v_mul_lo_u32 v6, s3, v5
	v_mad_u64_u32 v[2:3], s[2:3], s2, v5, v[2:3]
	s_add_u32 s14, s14, 8
	v_add3_u32 v3, v6, v3, v1
	s_addc_u32 s15, s15, 0
	v_mov_b64_e32 v[6:7], s[6:7]
	s_add_u32 s18, s18, 8
	v_cmp_ge_u64_e32 vcc, s[16:17], v[6:7]
	s_addc_u32 s19, s19, 0
	s_cbranch_vccnz .LBB0_8
; %bb.7:                                ;   in Loop: Header=BB0_2 Depth=1
	v_mov_b64_e32 v[6:7], v[8:9]
	s_branch .LBB0_2
.LBB0_8:
	s_lshl_b64 s[2:3], s[6:7], 3
	s_add_u32 s2, s12, s2
	s_addc_u32 s3, s13, s3
	s_load_dwordx2 s[6:7], s[2:3], 0x0
	s_load_dwordx2 s[12:13], s[0:1], 0x20
	v_mov_b32_e32 v42, 0
                                        ; implicit-def: $vgpr24
                                        ; implicit-def: $vgpr6
                                        ; implicit-def: $vgpr20
                                        ; implicit-def: $vgpr12
                                        ; implicit-def: $vgpr10
                                        ; implicit-def: $vgpr16
                                        ; implicit-def: $vgpr18
                                        ; implicit-def: $vgpr14
	s_waitcnt lgkmcnt(0)
	v_mad_u64_u32 v[2:3], s[0:1], s6, v8, v[2:3]
	v_mul_lo_u32 v1, s6, v9
	v_mul_lo_u32 v4, s7, v8
	s_mov_b32 s0, 0x1745d175
	v_add3_u32 v3, v4, v3, v1
	v_mul_hi_u32 v1, v0, s0
	v_mul_u32_u24_e32 v1, 11, v1
	v_cmp_gt_u64_e32 vcc, s[12:13], v[8:9]
	v_sub_u32_e32 v43, v0, v1
	v_mov_b64_e32 v[4:5], 0
	v_lshl_add_u64 v[0:1], v[2:3], 3, s[10:11]
                                        ; implicit-def: $vgpr8
                                        ; implicit-def: $vgpr2
	s_and_saveexec_b64 s[0:1], vcc
	s_cbranch_execz .LBB0_10
; %bb.9:
	v_mad_u64_u32 v[2:3], s[2:3], s8, v43, 0
	v_mov_b32_e32 v4, v3
	v_mad_u64_u32 v[4:5], s[2:3], s9, v43, v[4:5]
	v_add_u32_e32 v7, 11, v43
	v_mov_b32_e32 v3, v4
	v_mad_u64_u32 v[4:5], s[2:3], s8, v7, 0
	v_mov_b32_e32 v6, v5
	v_mad_u64_u32 v[6:7], s[2:3], s9, v7, v[6:7]
	v_mov_b32_e32 v5, v6
	v_add_u32_e32 v7, 22, v43
	v_lshl_add_u64 v[8:9], v[4:5], 3, v[0:1]
	v_mad_u64_u32 v[4:5], s[2:3], s8, v7, 0
	v_mov_b32_e32 v6, v5
	v_mad_u64_u32 v[6:7], s[2:3], s9, v7, v[6:7]
	v_mov_b32_e32 v5, v6
	v_add_u32_e32 v7, 33, v43
	v_lshl_add_u64 v[10:11], v[4:5], 3, v[0:1]
	v_mad_u64_u32 v[4:5], s[2:3], s8, v7, 0
	v_mov_b32_e32 v6, v5
	v_mad_u64_u32 v[6:7], s[2:3], s9, v7, v[6:7]
	v_lshl_add_u64 v[2:3], v[2:3], 3, v[0:1]
	v_mov_b32_e32 v5, v6
	v_lshl_add_u64 v[12:13], v[4:5], 3, v[0:1]
	global_load_dwordx2 v[4:5], v[2:3], off
	global_load_dwordx2 v[26:27], v[8:9], off
	;; [unrolled: 1-line block ×4, first 2 shown]
	v_add_u32_e32 v9, 44, v43
	v_mad_u64_u32 v[2:3], s[2:3], s8, v9, 0
	v_mov_b32_e32 v8, v3
	v_mad_u64_u32 v[8:9], s[2:3], s9, v9, v[8:9]
	v_mov_b32_e32 v3, v8
	v_add_u32_e32 v9, 55, v43
	v_lshl_add_u64 v[10:11], v[2:3], 3, v[0:1]
	v_mad_u64_u32 v[2:3], s[2:3], s8, v9, 0
	v_mov_b32_e32 v8, v3
	v_mad_u64_u32 v[8:9], s[2:3], s9, v9, v[8:9]
	v_mov_b32_e32 v3, v8
	v_add_u32_e32 v9, 0x42, v43
	v_lshl_add_u64 v[16:17], v[2:3], 3, v[0:1]
	;; [unrolled: 6-line block ×3, first 2 shown]
	v_mad_u64_u32 v[2:3], s[2:3], s8, v9, 0
	v_mov_b32_e32 v8, v3
	v_mad_u64_u32 v[8:9], s[2:3], s9, v9, v[8:9]
	v_mov_b32_e32 v3, v8
	v_lshl_add_u64 v[24:25], v[2:3], 3, v[0:1]
	global_load_dwordx2 v[12:13], v[10:11], off
	global_load_dwordx2 v[8:9], v[16:17], off
	;; [unrolled: 1-line block ×4, first 2 shown]
	v_add_u32_e32 v17, 0x58, v43
	v_mad_u64_u32 v[10:11], s[2:3], s8, v17, 0
	v_mov_b32_e32 v16, v11
	v_mad_u64_u32 v[16:17], s[2:3], s9, v17, v[16:17]
	v_mov_b32_e32 v11, v16
	v_add_u32_e32 v17, 0x63, v43
	v_lshl_add_u64 v[24:25], v[10:11], 3, v[0:1]
	v_mad_u64_u32 v[10:11], s[2:3], s8, v17, 0
	v_mov_b32_e32 v16, v11
	v_mad_u64_u32 v[16:17], s[2:3], s9, v17, v[16:17]
	v_mov_b32_e32 v11, v16
	v_add_u32_e32 v17, 0x6e, v43
	v_lshl_add_u64 v[28:29], v[10:11], 3, v[0:1]
	v_mad_u64_u32 v[10:11], s[2:3], s8, v17, 0
	v_mov_b32_e32 v16, v11
	v_mad_u64_u32 v[16:17], s[2:3], s9, v17, v[16:17]
	v_mov_b32_e32 v11, v16
	v_lshl_add_u64 v[30:31], v[10:11], 3, v[0:1]
	global_load_dwordx2 v[18:19], v[24:25], off
	global_load_dwordx2 v[16:17], v[28:29], off
	global_load_dwordx2 v[10:11], v[30:31], off
	v_mov_b32_e32 v42, v43
	s_waitcnt vmcnt(9)
	v_mov_b32_e32 v25, v27
	s_waitcnt vmcnt(7)
	v_mov_b32_e32 v24, v7
	v_mov_b32_e32 v7, v26
.LBB0_10:
	s_or_b64 exec, exec, s[0:1]
	s_mov_b32 s0, 0xba2e8ba3
	v_mul_hi_u32 v23, v22, s0
	v_lshrrev_b32_e32 v23, 3, v23
	v_mul_lo_u32 v23, v23, 11
	v_sub_u32_e32 v22, v22, v23
	v_mul_u32_u24_e32 v45, 0x79, v22
	v_add_f32_e32 v22, v7, v4
	s_mov_b32 s6, 0xbf4178ce
	s_mov_b32 s12, 0xbe903f40
	v_add_f32_e32 v44, v20, v22
	s_waitcnt vmcnt(0)
	v_pk_add_f32 v[40:41], v[24:25], v[10:11] neg_lo:[0,1] neg_hi:[0,1]
	s_mov_b32 s2, 0xbf7d64f0
	s_mov_b32 s7, 0xbf27a4f4
	;; [unrolled: 1-line block ×3, first 2 shown]
	v_lshl_add_u32 v106, v45, 2, 0
	v_mov_b32_e32 v45, v10
	s_mov_b32 s14, 0x3f0a6770
	s_mov_b32 s10, 0x3f7d64f0
	;; [unrolled: 1-line block ×5, first 2 shown]
	v_pk_add_f32 v[28:29], v[20:21], v[16:17] neg_lo:[0,1] neg_hi:[0,1]
	v_mov_b32_e32 v26, v6
	v_mov_b32_e32 v27, v24
	s_mov_b32 s3, 0xbe11bafb
	v_pk_add_f32 v[44:45], v[6:7], v[44:45]
	s_mov_b32 s30, s7
	s_mov_b32 s31, s13
	v_pk_mul_f32 v[46:47], v[40:41], s[42:43] op_sel:[1,0]
	s_mov_b32 s44, s10
	s_mov_b32 s45, s14
	v_pk_add_f32 v[22:23], v[20:21], v[16:17]
	v_pk_add_f32 v[32:33], v[26:27], v[18:19] neg_lo:[0,1] neg_hi:[0,1]
	s_mov_b32 s17, 0x3f575c64
	s_mov_b32 s19, 0x3f68dda4
	;; [unrolled: 1-line block ×3, first 2 shown]
	v_pk_mul_f32 v[48:49], v[28:29], s[44:45] op_sel:[1,0]
	s_mov_b32 s46, s11
	s_mov_b32 s47, s6
	v_pk_fma_f32 v[58:59], v[44:45], s[30:31], v[46:47] op_sel:[1,0,0] neg_lo:[0,0,1] neg_hi:[0,0,1]
	s_mov_b32 s1, 0x3ed4b147
	v_pk_add_f32 v[26:27], v[26:27], v[18:19]
	v_pk_add_f32 v[36:37], v[12:13], v[2:3] neg_lo:[0,1] neg_hi:[0,1]
	s_mov_b32 s36, s17
	s_mov_b32 s37, s7
	v_pk_mul_f32 v[50:51], v[32:33], s[46:47] op_sel:[1,0]
	s_mov_b32 s48, s12
	s_mov_b32 s49, s19
	v_pk_fma_f32 v[56:57], v[22:23], s[16:17], v[48:49] op_sel_hi:[0,1,1] neg_lo:[0,0,1] neg_hi:[0,0,1]
	v_pk_add_f32 v[58:59], v[58:59], v[4:5] op_sel_hi:[1,0]
	v_pk_add_f32 v[30:31], v[12:13], v[2:3]
	v_pk_add_f32 v[38:39], v[8:9], v[14:15] neg_lo:[0,1] neg_hi:[0,1]
	s_mov_b32 s34, s13
	s_mov_b32 s35, s1
	v_pk_mul_f32 v[52:53], v[36:37], s[48:49] op_sel:[1,0]
	s_mov_b32 s50, s19
	s_mov_b32 s51, s2
	v_pk_add_f32 v[56:57], v[56:57], v[58:59]
	v_pk_fma_f32 v[58:59], v[26:27], s[36:37], v[50:51] op_sel_hi:[0,1,1] neg_lo:[0,0,1] neg_hi:[0,0,1]
	v_pk_add_f32 v[34:35], v[8:9], v[14:15]
	s_mov_b32 s38, s1
	s_mov_b32 s39, s3
	v_pk_mul_f32 v[54:55], v[38:39], s[50:51] op_sel:[1,0]
	v_pk_add_f32 v[56:57], v[58:59], v[56:57]
	v_pk_fma_f32 v[58:59], v[30:31], s[34:35], v[52:53] op_sel_hi:[0,1,1] neg_lo:[0,0,1] neg_hi:[0,0,1]
	s_mov_b32 s0, 0xbf68dda4
	v_pk_add_f32 v[56:57], v[58:59], v[56:57]
	v_pk_fma_f32 v[58:59], v[34:35], s[38:39], v[54:55] op_sel_hi:[0,1,1] neg_lo:[0,0,1] neg_hi:[0,0,1]
	v_mad_u32_u24 v107, v43, 44, v106
	s_mov_b32 s40, s0
	s_mov_b32 s41, s2
	v_pk_add_f32 v[56:57], v[58:59], v[56:57]
	ds_write2_b32 v107, v57, v56 offset0:6 offset1:7
	v_pk_mul_f32 v[56:57], v[40:41], s[40:41] op_sel:[1,0]
	s_mov_b32 s27, 0x3e903f40
	s_mov_b32 s26, s6
	v_pk_fma_f32 v[58:59], v[44:45], s[38:39], v[56:57] op_sel:[1,0,0] neg_lo:[0,0,1] neg_hi:[0,0,1]
	v_pk_mul_f32 v[60:61], v[28:29], s[26:27] op_sel:[1,0]
	v_pk_add_f32 v[58:59], v[58:59], v[4:5] op_sel_hi:[1,0]
	v_pk_fma_f32 v[62:63], v[22:23], s[30:31], v[60:61] op_sel_hi:[0,1,1] neg_lo:[0,0,1] neg_hi:[0,0,1]
	s_mov_b32 s18, s27
	v_pk_add_f32 v[58:59], v[62:63], v[58:59]
	v_pk_mul_f32 v[62:63], v[32:33], s[18:19] op_sel:[1,0]
	s_mov_b32 s15, s6
	v_pk_fma_f32 v[64:65], v[26:27], s[34:35], v[62:63] op_sel_hi:[0,1,1] neg_lo:[0,0,1] neg_hi:[0,0,1]
	v_pk_add_f32 v[58:59], v[64:65], v[58:59]
	v_pk_mul_f32 v[64:65], v[36:37], s[10:11] op_sel:[1,0]
	s_mov_b32 s28, s1
	v_pk_fma_f32 v[66:67], v[30:31], s[16:17], v[64:65] op_sel_hi:[0,1,1] neg_lo:[0,0,1] neg_hi:[0,0,1]
	;; [unrolled: 4-line block ×3, first 2 shown]
	v_pk_add_f32 v[58:59], v[68:69], v[58:59]
	ds_write2_b32 v107, v59, v58 offset0:8 offset1:9
	v_mov_b32_e32 v58, v29
	v_mov_b32_e32 v59, v22
	v_pk_mul_f32 v[68:69], v[58:59], s[0:1]
	s_mov_b32 s20, s3
	v_mov_b32_e32 v71, v68
	v_pk_fma_f32 v[58:59], v[58:59], s[0:1], v[70:71]
	v_mov_b32_e32 v70, v23
	v_mov_b32_e32 v71, v28
	v_pk_mul_f32 v[72:73], v[70:71], s[28:29]
	s_mov_b32 s21, s2
	v_mov_b32_e32 v75, v72
	v_pk_fma_f32 v[70:71], v[70:71], s[28:29], v[74:75] neg_lo:[1,0,0] neg_hi:[1,0,0]
	v_mov_b32_e32 v74, v33
	v_mov_b32_e32 v75, v26
	v_pk_mul_f32 v[76:77], v[74:75], s[2:3]
	s_mov_b32 s22, s7
	v_mov_b32_e32 v79, v76
	v_pk_fma_f32 v[74:75], v[74:75], s[2:3], v[78:79]
	v_mov_b32_e32 v78, v27
	v_mov_b32_e32 v79, v32
	v_pk_mul_f32 v[80:81], v[78:79], s[20:21]
	s_mov_b32 s23, s6
	v_mov_b32_e32 v83, v80
	v_pk_fma_f32 v[78:79], v[78:79], s[20:21], v[82:83] neg_lo:[1,0,0] neg_hi:[1,0,0]
	;; [unrolled: 12-line block ×3, first 2 shown]
	v_mov_b32_e32 v90, v39
	v_mov_b32_e32 v91, v34
	v_pk_mul_f32 v[92:93], v[90:91], s[12:13]
	v_pk_add_f32 v[100:101], v[12:13], v[44:45]
	v_mov_b32_e32 v95, v92
	v_pk_fma_f32 v[90:91], v[90:91], s[12:13], v[94:95]
	v_mov_b32_e32 v94, v35
	v_mov_b32_e32 v95, v38
	v_pk_mul_f32 v[96:97], v[94:95], s[24:25]
	v_mul_f32_e32 v105, 0xbf0a6770, v41
	v_mov_b32_e32 v99, v96
	v_pk_fma_f32 v[94:95], v[94:95], s[24:25], v[98:99] neg_lo:[1,0,0] neg_hi:[1,0,0]
	v_mov_b32_e32 v99, 0x3f575c64
	v_mov_b32_e32 v98, v12
	v_pk_mul_f32 v[102:103], v[98:99], v[44:45]
	v_mov_b32_e32 v104, v8
	v_mov_b32_e32 v101, v103
	v_pk_add_f32 v[100:101], v[104:105], v[100:101]
	v_mov_b32_e32 v104, v14
	v_mov_b32_e32 v105, v4
	v_pk_add_f32 v[100:101], v[104:105], v[100:101]
	v_mov_b32_e32 v58, v2
	v_fmac_f32_e32 v103, 0x3f0a6770, v41
	v_pk_add_f32 v[40:41], v[58:59], v[100:101]
	v_mov_b32_e32 v74, v18
	v_pk_add_f32 v[40:41], v[74:75], v[40:41]
	v_mov_b32_e32 v82, v16
	;; [unrolled: 2-line block ×3, first 2 shown]
	v_pk_add_f32 v[40:41], v[90:91], v[40:41]
	v_pk_fma_f32 v[56:57], v[44:45], s[38:39], v[56:57] op_sel:[1,0,0]
	ds_write2_b32 v107, v40, v41 offset1:1
	v_pk_fma_f32 v[40:41], v[22:23], s[30:31], v[60:61] op_sel_hi:[0,1,1]
	v_pk_add_f32 v[56:57], v[56:57], v[4:5] op_sel_hi:[1,0]
	v_add_f32_e32 v2, v25, v5
	v_pk_add_f32 v[40:41], v[40:41], v[56:57]
	v_pk_fma_f32 v[56:57], v[26:27], s[34:35], v[62:63] op_sel_hi:[0,1,1]
	v_pk_add_f32 v[40:41], v[56:57], v[40:41]
	v_pk_fma_f32 v[56:57], v[30:31], s[16:17], v[64:65] op_sel_hi:[0,1,1]
	;; [unrolled: 2-line block ×3, first 2 shown]
	v_pk_add_f32 v[40:41], v[56:57], v[40:41]
	ds_write2_b32 v107, v40, v41 offset0:2 offset1:3
	v_pk_fma_f32 v[40:41], v[44:45], s[30:31], v[46:47] op_sel:[1,0,0]
	v_add_f32_e32 v6, v21, v2
	v_sub_f32_e32 v2, v69, v68
	v_add_f32_e32 v16, v103, v4
	v_pk_fma_f32 v[44:45], v[22:23], s[16:17], v[48:49] op_sel_hi:[0,1,1]
	v_pk_add_f32 v[40:41], v[40:41], v[4:5] op_sel_hi:[1,0]
	v_sub_f32_e32 v8, v77, v76
	v_add_f32_e32 v2, v2, v16
	v_pk_add_f32 v[40:41], v[44:45], v[40:41]
	v_pk_fma_f32 v[44:45], v[26:27], s[36:37], v[50:51] op_sel_hi:[0,1,1]
	v_sub_f32_e32 v12, v85, v84
	v_add_f32_e32 v2, v8, v2
	v_pk_add_f32 v[40:41], v[44:45], v[40:41]
	v_pk_fma_f32 v[44:45], v[30:31], s[34:35], v[52:53] op_sel_hi:[0,1,1]
	v_sub_f32_e32 v14, v93, v92
	v_add_f32_e32 v2, v12, v2
	v_pk_add_f32 v[40:41], v[44:45], v[40:41]
	v_add_f32_e32 v8, v14, v2
	v_mov_b32_e32 v2, v7
	v_pk_fma_f32 v[20:21], v[34:35], s[38:39], v[54:55] op_sel_hi:[0,1,1]
	v_mov_b32_e32 v7, v11
	v_pk_add_f32 v[44:45], v[2:3], v[10:11] op_sel_hi:[0,1] neg_lo:[0,1] neg_hi:[0,1]
	v_pk_add_f32 v[20:21], v[20:21], v[40:41]
	v_pk_add_f32 v[24:25], v[24:25], v[6:7]
	v_mov_b32_e32 v98, v13
	v_mul_f32_e32 v41, 0xbf0a6770, v44
	ds_write2_b32 v107, v20, v21 offset0:4 offset1:5
	ds_write_b32 v107, v8 offset:40
	v_pk_add_f32 v[6:7], v[98:99], v[24:25]
	v_mov_b32_e32 v40, v9
	v_mov_b32_e32 v8, v9
	v_pk_add_f32 v[12:13], v[6:7], v[8:9] op_sel_hi:[1,0]
	v_pk_fma_f32 v[6:7], v[98:99], v[24:25], v[40:41] neg_lo:[0,0,1] neg_hi:[0,0,1]
	v_mov_b32_e32 v14, v15
	v_mov_b32_e32 v13, v7
	;; [unrolled: 1-line block ×3, first 2 shown]
	v_pk_mul_f32 v[46:47], v[98:99], v[24:25]
	v_pk_add_f32 v[40:41], v[14:15], v[12:13]
	v_mov_b32_e32 v70, v3
	v_fmac_f32_e32 v47, 0xbf0a6770, v44
	v_add_f32_e32 v18, v72, v73
	v_add_f32_e32 v3, v47, v5
	v_pk_add_f32 v[40:41], v[70:71], v[40:41]
	v_mov_b32_e32 v78, v19
	v_add_f32_e32 v3, v18, v3
	v_pk_add_f32 v[18:19], v[78:79], v[40:41]
	v_mov_b32_e32 v86, v17
	s_movk_i32 s33, 0xffd8
	v_pk_add_f32 v[18:19], v[86:87], v[18:19]
	v_mov_b32_e32 v94, v11
	v_lshl_add_u32 v10, v43, 2, v106
	v_mad_i32_i24 v16, v43, s33, v107
	v_pk_add_f32 v[18:19], v[94:95], v[18:19]
	v_add_f32_e32 v48, v80, v81
	s_waitcnt lgkmcnt(0)
	s_barrier
	ds_read_b32 v2, v10
	ds_read2_b32 v[20:21], v16 offset0:11 offset1:22
	ds_read2_b32 v[8:9], v16 offset0:33 offset1:44
	;; [unrolled: 1-line block ×5, first 2 shown]
	s_waitcnt lgkmcnt(0)
	s_barrier
	ds_write2_b32 v107, v18, v19 offset1:1
	v_pk_mul_f32 v[18:19], v[44:45], s[40:41] op_sel_hi:[0,1]
	v_add_f32_e32 v49, v88, v89
	v_add_f32_e32 v3, v48, v3
	v_pk_mul_f32 v[40:41], v[28:29], s[26:27] op_sel_hi:[0,1]
	v_pk_fma_f32 v[60:61], v[24:25], s[38:39], v[18:19] op_sel:[1,0,0] neg_lo:[0,0,1] neg_hi:[0,0,1]
	v_add_f32_e32 v50, v96, v97
	v_add_f32_e32 v3, v49, v3
	v_pk_fma_f32 v[46:47], v[22:23], s[30:31], v[40:41] op_sel:[1,0,0] neg_lo:[0,0,1] neg_hi:[0,0,1]
	v_pk_mul_f32 v[48:49], v[32:33], s[18:19] op_sel_hi:[0,1]
	v_pk_add_f32 v[60:61], v[60:61], v[4:5] op_sel:[0,1]
	v_add_f32_e32 v11, v50, v3
	v_pk_fma_f32 v[50:51], v[26:27], s[34:35], v[48:49] op_sel:[1,0,0] neg_lo:[0,0,1] neg_hi:[0,0,1]
	v_pk_mul_f32 v[52:53], v[36:37], s[10:11] op_sel_hi:[0,1]
	v_pk_add_f32 v[46:47], v[46:47], v[60:61]
	v_pk_fma_f32 v[54:55], v[30:31], s[16:17], v[52:53] op_sel:[1,0,0] neg_lo:[0,0,1] neg_hi:[0,0,1]
	v_pk_mul_f32 v[56:57], v[38:39], s[14:15] op_sel_hi:[0,1]
	v_pk_add_f32 v[46:47], v[50:51], v[46:47]
	v_pk_fma_f32 v[58:59], v[34:35], s[36:37], v[56:57] op_sel:[1,0,0] neg_lo:[0,0,1] neg_hi:[0,0,1]
	v_pk_add_f32 v[46:47], v[54:55], v[46:47]
	v_pk_mul_f32 v[44:45], v[44:45], s[42:43] op_sel_hi:[0,1]
	v_pk_add_f32 v[46:47], v[58:59], v[46:47]
	v_pk_mul_f32 v[28:29], v[28:29], s[44:45] op_sel_hi:[0,1]
	v_pk_fma_f32 v[60:61], v[24:25], s[30:31], v[44:45] op_sel:[1,0,0] neg_lo:[0,0,1] neg_hi:[0,0,1]
	v_pk_fma_f32 v[44:45], v[24:25], s[30:31], v[44:45] op_sel:[1,0,0]
	ds_write2_b32 v107, v46, v47 offset0:2 offset1:3
	v_pk_fma_f32 v[46:47], v[22:23], s[16:17], v[28:29] op_sel:[1,0,0] neg_lo:[0,0,1] neg_hi:[0,0,1]
	v_pk_mul_f32 v[32:33], v[32:33], s[46:47] op_sel_hi:[0,1]
	v_pk_fma_f32 v[28:29], v[22:23], s[16:17], v[28:29] op_sel:[1,0,0]
	v_pk_add_f32 v[44:45], v[44:45], v[4:5] op_sel:[0,1]
	v_pk_fma_f32 v[50:51], v[26:27], s[36:37], v[32:33] op_sel:[1,0,0] neg_lo:[0,0,1] neg_hi:[0,0,1]
	v_pk_mul_f32 v[36:37], v[36:37], s[48:49] op_sel_hi:[0,1]
	v_pk_fma_f32 v[32:33], v[26:27], s[36:37], v[32:33] op_sel:[1,0,0]
	v_pk_add_f32 v[28:29], v[28:29], v[44:45]
	v_pk_fma_f32 v[54:55], v[30:31], s[34:35], v[36:37] op_sel:[1,0,0] neg_lo:[0,0,1] neg_hi:[0,0,1]
	v_pk_mul_f32 v[38:39], v[38:39], s[50:51] op_sel_hi:[0,1]
	v_pk_fma_f32 v[36:37], v[30:31], s[34:35], v[36:37] op_sel:[1,0,0]
	v_pk_add_f32 v[28:29], v[32:33], v[28:29]
	v_pk_fma_f32 v[18:19], v[24:25], s[38:39], v[18:19] op_sel:[1,0,0]
	v_pk_fma_f32 v[58:59], v[34:35], s[38:39], v[38:39] op_sel:[1,0,0] neg_lo:[0,0,1] neg_hi:[0,0,1]
	v_pk_add_f32 v[60:61], v[60:61], v[4:5] op_sel:[0,1]
	v_pk_fma_f32 v[38:39], v[34:35], s[38:39], v[38:39] op_sel:[1,0,0]
	v_pk_add_f32 v[28:29], v[36:37], v[28:29]
	v_pk_fma_f32 v[22:23], v[22:23], s[30:31], v[40:41] op_sel:[1,0,0]
	v_pk_add_f32 v[4:5], v[18:19], v[4:5] op_sel:[0,1]
	v_pk_add_f32 v[46:47], v[46:47], v[60:61]
	v_pk_add_f32 v[28:29], v[38:39], v[28:29]
	v_pk_fma_f32 v[26:27], v[26:27], s[34:35], v[48:49] op_sel:[1,0,0]
	v_pk_add_f32 v[4:5], v[22:23], v[4:5]
	v_pk_add_f32 v[46:47], v[50:51], v[46:47]
	ds_write2_b32 v107, v29, v28 offset0:6 offset1:7
	v_pk_fma_f32 v[28:29], v[30:31], s[16:17], v[52:53] op_sel:[1,0,0]
	v_pk_add_f32 v[4:5], v[26:27], v[4:5]
	v_pk_add_f32 v[46:47], v[54:55], v[46:47]
	v_pk_fma_f32 v[30:31], v[34:35], s[36:37], v[56:57] op_sel:[1,0,0]
	v_pk_add_f32 v[4:5], v[28:29], v[4:5]
	v_pk_add_f32 v[46:47], v[58:59], v[46:47]
	;; [unrolled: 1-line block ×3, first 2 shown]
	ds_write2_b32 v107, v46, v47 offset0:4 offset1:5
	v_mov_b32_e32 v3, v4
	ds_write2_b32 v107, v5, v4 offset0:8 offset1:9
	ds_write_b32 v107, v11 offset:40
	s_waitcnt lgkmcnt(0)
	s_barrier
	s_and_saveexec_b64 s[30:31], vcc
	s_cbranch_execz .LBB0_12
; %bb.11:
	v_mul_u32_u24_e32 v3, 10, v43
	v_lshlrev_b32_e32 v3, 3, v3
	global_load_dwordx4 v[22:25], v3, s[4:5]
	global_load_dwordx4 v[26:29], v3, s[4:5] offset:64
	global_load_dwordx4 v[30:33], v3, s[4:5] offset:16
	;; [unrolled: 1-line block ×4, first 2 shown]
	ds_read2_b32 v[4:5], v16 offset0:99 offset1:110
	ds_read2_b32 v[18:19], v16 offset0:11 offset1:22
	ds_read_b32 v3, v10
	ds_read2_b32 v[10:11], v16 offset0:77 offset1:88
	ds_read2_b32 v[44:45], v16 offset0:33 offset1:44
	ds_read2_b32 v[16:17], v16 offset0:55 offset1:66
	v_mad_u64_u32 v[46:47], s[4:5], s8, v42, 0
	v_mov_b32_e32 v50, v21
	v_mov_b32_e32 v52, v13
	;; [unrolled: 1-line block ×3, first 2 shown]
	s_waitcnt lgkmcnt(4)
	v_mov_b32_e32 v62, v19
	v_mad_u64_u32 v[58:59], s[4:5], s9, v42, v[58:59]
	s_waitcnt lgkmcnt(2)
	v_mov_b32_e32 v64, v11
	s_waitcnt lgkmcnt(1)
	v_mov_b32_e32 v66, v45
	s_waitcnt lgkmcnt(0)
	v_mov_b32_e32 v68, v17
	v_mov_b32_e32 v54, v9
	v_mov_b32_e32 v56, v7
	v_mov_b32_e32 v47, v58
	v_mov_b32_e32 v58, v5
	v_mov_b32_e32 v48, v15
	v_add_u32_e32 v43, 11, v42
	v_mad_u64_u32 v[60:61], s[4:5], s8, v43, 0
	v_lshl_add_u64 v[46:47], v[46:47], 3, v[0:1]
	s_mov_b32 s16, s11
	s_mov_b32 s26, s13
	s_mov_b32 s30, s27
	s_mov_b32 s31, s13
	s_mov_b32 s15, s17
	s_mov_b32 s18, s1
	s_waitcnt vmcnt(4)
	v_mul_f32_e32 v13, v20, v23
	v_mul_f32_e32 v70, v18, v23
	v_mov_b32_e32 v72, v25
	v_mov_b32_e32 v73, v24
	v_pk_mul_f32 v[24:25], v[50:51], v[24:25] op_sel_hi:[0,1]
	s_waitcnt vmcnt(2)
	v_pk_mul_f32 v[44:45], v[44:45], v[30:31] op_sel_hi:[0,1]
	s_waitcnt vmcnt(0)
	v_pk_mul_f32 v[16:17], v[16:17], v[38:39] op_sel_hi:[0,1]
	v_fma_f32 v71, v18, v22, -v13
	v_fmac_f32_e32 v70, v20, v22
	v_pk_fma_f32 v[22:23], v[62:63], v[72:73], v[24:25] op_sel_hi:[0,1,1]
	v_pk_fma_f32 v[24:25], v[62:63], v[72:73], v[24:25] op_sel_hi:[0,1,1] neg_lo:[0,0,1] neg_hi:[0,0,1]
	v_pk_mul_f32 v[50:51], v[64:65], v[36:37] op_sel_hi:[0,1]
	v_pk_mul_f32 v[64:65], v[66:67], v[32:33] op_sel_hi:[0,1]
	;; [unrolled: 1-line block ×3, first 2 shown]
	v_pk_fma_f32 v[62:63], v[8:9], v[30:31], v[44:45] op_sel:[0,0,1] op_sel_hi:[0,1,0]
	v_pk_fma_f32 v[44:45], v[8:9], v[30:31], v[44:45] op_sel:[0,0,1] op_sel_hi:[0,1,0] neg_lo:[1,0,0] neg_hi:[1,0,0]
	v_pk_fma_f32 v[74:75], v[6:7], v[38:39], v[16:17] op_sel:[0,0,1] op_sel_hi:[0,1,0]
	v_pk_fma_f32 v[76:77], v[6:7], v[38:39], v[16:17] op_sel:[0,0,1] op_sel_hi:[0,1,0] neg_lo:[1,0,0] neg_hi:[1,0,0]
	v_mov_b32_e32 v6, v22
	v_mov_b32_e32 v7, v25
	v_pk_add_f32 v[30:31], v[2:3], v[70:71]
	v_pk_mul_f32 v[58:59], v[58:59], v[28:29] op_sel_hi:[0,1]
	v_pk_mul_f32 v[4:5], v[4:5], v[26:27] op_sel_hi:[0,1]
	;; [unrolled: 1-line block ×3, first 2 shown]
	v_pk_fma_f32 v[68:69], v[52:53], v[36:37], v[50:51] op_sel:[0,0,1] op_sel_hi:[0,1,0]
	v_pk_fma_f32 v[50:51], v[52:53], v[36:37], v[50:51] op_sel:[0,0,1] op_sel_hi:[0,1,0] neg_lo:[1,0,0] neg_hi:[1,0,0]
	v_pk_fma_f32 v[52:53], v[54:55], v[32:33], v[64:65] op_sel:[0,0,1] op_sel_hi:[0,1,0]
	v_pk_fma_f32 v[54:55], v[54:55], v[32:33], v[64:65] op_sel:[0,0,1] op_sel_hi:[0,1,0] neg_lo:[1,0,0] neg_hi:[1,0,0]
	;; [unrolled: 2-line block ×3, first 2 shown]
	v_mov_b32_e32 v10, v62
	v_mov_b32_e32 v11, v45
	v_pk_add_f32 v[6:7], v[30:31], v[6:7]
	v_pk_fma_f32 v[18:19], v[48:49], v[28:29], v[58:59] op_sel:[0,0,1] op_sel_hi:[0,1,0]
	v_pk_fma_f32 v[20:21], v[48:49], v[28:29], v[58:59] op_sel:[0,0,1] op_sel_hi:[0,1,0] neg_lo:[1,0,0] neg_hi:[1,0,0]
	v_pk_fma_f32 v[48:49], v[14:15], v[26:27], v[4:5] op_sel:[0,0,1] op_sel_hi:[0,1,0]
	v_pk_fma_f32 v[58:59], v[14:15], v[26:27], v[4:5] op_sel:[0,0,1] op_sel_hi:[0,1,0] neg_lo:[1,0,0] neg_hi:[1,0,0]
	v_mov_b32_e32 v14, v52
	v_mov_b32_e32 v15, v55
	v_pk_add_f32 v[6:7], v[6:7], v[10:11]
	v_pk_fma_f32 v[78:79], v[56:57], v[40:41], v[66:67] op_sel:[0,0,1] op_sel_hi:[0,1,0]
	v_pk_fma_f32 v[40:41], v[56:57], v[40:41], v[66:67] op_sel:[0,0,1] op_sel_hi:[0,1,0] neg_lo:[1,0,0] neg_hi:[1,0,0]
	v_mov_b32_e32 v26, v74
	v_mov_b32_e32 v27, v77
	v_pk_add_f32 v[6:7], v[6:7], v[14:15]
	v_mov_b32_e32 v28, v78
	v_mov_b32_e32 v29, v41
	v_pk_add_f32 v[6:7], v[6:7], v[26:27]
	;; [unrolled: 3-line block ×6, first 2 shown]
	v_add_u32_e32 v9, 0x42, v42
	v_pk_add_f32 v[4:5], v[4:5], v[6:7]
	global_store_dwordx2 v[46:47], v[4:5], off
	v_mov_b32_e32 v4, v61
	v_mad_u64_u32 v[4:5], s[4:5], s9, v43, v[4:5]
	v_add_u32_e32 v7, 22, v42
	v_mov_b32_e32 v61, v4
	v_mad_u64_u32 v[4:5], s[4:5], s8, v7, 0
	v_mov_b32_e32 v6, v5
	v_mad_u64_u32 v[6:7], s[4:5], s9, v7, v[6:7]
	v_mov_b32_e32 v5, v6
	v_add_u32_e32 v7, 33, v42
	v_lshl_add_u64 v[56:57], v[4:5], 3, v[0:1]
	v_mad_u64_u32 v[4:5], s[4:5], s8, v7, 0
	v_mov_b32_e32 v6, v5
	v_mad_u64_u32 v[6:7], s[4:5], s9, v7, v[6:7]
	v_mov_b32_e32 v5, v6
	v_add_u32_e32 v7, 44, v42
	v_lshl_add_u64 v[30:31], v[4:5], 3, v[0:1]
	;; [unrolled: 6-line block ×3, first 2 shown]
	v_mad_u64_u32 v[4:5], s[4:5], s8, v7, 0
	v_mov_b32_e32 v6, v5
	v_mad_u64_u32 v[6:7], s[4:5], s9, v7, v[6:7]
	v_mov_b32_e32 v5, v6
	;; [unrolled: 2-line block ×3, first 2 shown]
	v_mad_u64_u32 v[8:9], s[4:5], s9, v9, v[8:9]
	v_add_u32_e32 v11, 0x4d, v42
	v_mov_b32_e32 v7, v8
	v_mad_u64_u32 v[8:9], s[4:5], s8, v11, 0
	v_mov_b32_e32 v10, v9
	v_mad_u64_u32 v[10:11], s[4:5], s9, v11, v[10:11]
	v_add_u32_e32 v13, 0x58, v42
	v_mov_b32_e32 v9, v10
	v_mad_u64_u32 v[10:11], s[4:5], s8, v13, 0
	v_mov_b32_e32 v12, v11
	;; [unrolled: 5-line block ×4, first 2 shown]
	v_mad_u64_u32 v[26:27], s[4:5], s9, v27, v[26:27]
	v_mov_b32_e32 v17, v26
	v_lshl_add_u64 v[46:47], v[60:61], 3, v[0:1]
	v_lshl_add_u64 v[4:5], v[4:5], 3, v[0:1]
	;; [unrolled: 1-line block ×7, first 2 shown]
	v_mov_b32_e32 v16, v71
	v_mov_b32_e32 v28, v71
	v_pk_add_f32 v[36:37], v[70:71], v[18:19]
	v_pk_add_f32 v[18:19], v[70:71], v[18:19] neg_lo:[0,1] neg_hi:[0,1]
	v_pk_add_f32 v[26:27], v[16:17], v[20:21] op_sel:[0,1] neg_lo:[0,1] neg_hi:[0,1]
	v_pk_add_f32 v[16:17], v[28:29], v[20:21] op_sel_hi:[0,1]
	v_mov_b32_e32 v37, v18
	v_pk_add_f32 v[28:29], v[24:25], v[58:59] neg_lo:[0,1] neg_hi:[0,1]
	v_pk_add_f32 v[18:19], v[24:25], v[58:59]
	v_pk_add_f32 v[42:43], v[22:23], v[48:49]
	v_pk_add_f32 v[20:21], v[22:23], v[48:49] neg_lo:[0,1] neg_hi:[0,1]
	v_pk_add_f32 v[48:49], v[52:53], v[64:65]
	v_pk_add_f32 v[24:25], v[52:53], v[64:65] neg_lo:[0,1] neg_hi:[0,1]
	v_mov_b32_e32 v43, v20
	v_pk_add_f32 v[32:33], v[44:45], v[50:51] neg_lo:[0,1] neg_hi:[0,1]
	v_pk_add_f32 v[20:21], v[44:45], v[50:51]
	v_mov_b32_e32 v49, v24
	v_pk_add_f32 v[38:39], v[76:77], v[40:41] neg_lo:[0,1] neg_hi:[0,1]
	v_pk_add_f32 v[24:25], v[76:77], v[40:41]
	v_pk_add_f32 v[40:41], v[74:75], v[78:79]
	v_pk_add_f32 v[50:51], v[74:75], v[78:79] neg_lo:[0,1] neg_hi:[0,1]
	s_mov_b32 s4, s17
	s_mov_b32 s5, s11
	v_mov_b32_e32 v16, v26
	v_mov_b32_e32 v41, v50
	v_pk_mul_f32 v[50:51], v[36:37], s[4:5]
	v_mov_b32_e32 v18, v29
	v_pk_add_f32 v[44:45], v[62:63], v[68:69]
	v_pk_add_f32 v[22:23], v[62:63], v[68:69] neg_lo:[0,1] neg_hi:[0,1]
	v_pk_mul_f32 v[52:53], v[42:43], s[28:29]
	v_pk_fma_f32 v[62:63], v[26:27], s[16:17], v[50:51] neg_lo:[1,0,0] neg_hi:[1,0,0]
	v_pk_fma_f32 v[64:65], v[16:17], s[16:17], v[50:51]
	v_mov_b32_e32 v45, v22
	v_mov_b32_e32 v63, v65
	v_pk_fma_f32 v[66:67], v[28:29], s[0:1], v[52:53] op_sel:[1,0,0] neg_lo:[1,0,0] neg_hi:[1,0,0]
	v_pk_fma_f32 v[68:69], v[18:19], s[0:1], v[52:53]
	v_mov_b32_e32 v20, v33
	v_pk_add_f32 v[34:35], v[54:55], v[72:73] neg_lo:[0,1] neg_hi:[0,1]
	v_pk_add_f32 v[22:23], v[54:55], v[72:73]
	v_pk_mul_f32 v[54:55], v[44:45], s[20:21]
	v_pk_add_f32 v[62:63], v[2:3], v[62:63]
	v_mov_b32_e32 v67, v69
	v_pk_add_f32 v[62:63], v[62:63], v[66:67]
	v_pk_fma_f32 v[66:67], v[32:33], s[2:3], v[54:55] op_sel:[1,0,0] neg_lo:[1,0,0] neg_hi:[1,0,0]
	v_pk_fma_f32 v[70:71], v[20:21], s[2:3], v[54:55]
	v_pk_fma_f32 v[50:51], v[16:17], s[16:17], v[50:51] neg_lo:[0,0,1] neg_hi:[0,0,1]
	v_mov_b32_e32 v22, v35
	v_pk_mul_f32 v[58:59], v[48:49], s[22:23]
	v_mov_b32_e32 v67, v71
	v_mov_b32_e32 v65, v51
	v_pk_fma_f32 v[52:53], v[18:19], s[0:1], v[52:53] neg_lo:[0,0,1] neg_hi:[0,0,1]
	v_pk_add_f32 v[62:63], v[62:63], v[66:67]
	v_pk_fma_f32 v[66:67], v[34:35], s[6:7], v[58:59] op_sel:[1,0,0] neg_lo:[1,0,0] neg_hi:[1,0,0]
	v_pk_fma_f32 v[72:73], v[22:23], s[6:7], v[58:59]
	v_pk_add_f32 v[50:51], v[2:3], v[64:65]
	v_mov_b32_e32 v69, v53
	v_pk_fma_f32 v[52:53], v[20:21], s[2:3], v[54:55] neg_lo:[0,0,1] neg_hi:[0,0,1]
	v_mov_b32_e32 v24, v39
	v_pk_mul_f32 v[60:61], v[40:41], s[24:25]
	v_mov_b32_e32 v67, v73
	v_pk_add_f32 v[50:51], v[50:51], v[68:69]
	v_mov_b32_e32 v71, v53
	v_pk_fma_f32 v[52:53], v[22:23], s[6:7], v[58:59] neg_lo:[0,0,1] neg_hi:[0,0,1]
	v_pk_add_f32 v[62:63], v[62:63], v[66:67]
	v_pk_fma_f32 v[66:67], v[38:39], s[12:13], v[60:61] op_sel:[1,0,0] neg_lo:[1,0,0] neg_hi:[1,0,0]
	v_pk_fma_f32 v[74:75], v[24:25], s[12:13], v[60:61]
	v_pk_add_f32 v[50:51], v[50:51], v[70:71]
	v_mov_b32_e32 v73, v53
	v_pk_fma_f32 v[52:53], v[24:25], s[12:13], v[60:61] neg_lo:[0,0,1] neg_hi:[0,0,1]
	v_mov_b32_e32 v67, v75
	v_pk_add_f32 v[50:51], v[50:51], v[72:73]
	v_mov_b32_e32 v75, v53
	v_pk_add_f32 v[50:51], v[50:51], v[74:75]
	global_store_dwordx2 v[46:47], v[50:51], off
	v_pk_mul_f32 v[46:47], v[36:37], s[28:29]
	v_pk_mul_f32 v[50:51], v[42:43], s[22:23]
	v_pk_fma_f32 v[60:61], v[26:27], s[0:1], v[46:47] neg_lo:[1,0,0] neg_hi:[1,0,0]
	v_pk_fma_f32 v[64:65], v[16:17], s[0:1], v[46:47]
	v_pk_add_f32 v[62:63], v[62:63], v[66:67]
	v_mov_b32_e32 v61, v65
	v_pk_fma_f32 v[66:67], v[28:29], s[6:7], v[50:51] op_sel:[1,0,0] neg_lo:[1,0,0] neg_hi:[1,0,0]
	v_pk_fma_f32 v[68:69], v[18:19], s[6:7], v[50:51]
	v_pk_mul_f32 v[52:53], v[44:45], s[26:27]
	v_pk_add_f32 v[60:61], v[2:3], v[60:61]
	v_mov_b32_e32 v67, v69
	s_mov_b32 s28, s3
	s_mov_b32 s29, s10
	v_pk_add_f32 v[60:61], v[60:61], v[66:67]
	v_pk_fma_f32 v[66:67], v[32:33], s[30:31], v[52:53] op_sel:[1,0,0] neg_lo:[1,0,0] neg_hi:[1,0,0]
	v_pk_fma_f32 v[70:71], v[20:21], s[30:31], v[52:53]
	v_pk_fma_f32 v[46:47], v[16:17], s[0:1], v[46:47] neg_lo:[0,0,1] neg_hi:[0,0,1]
	v_pk_mul_f32 v[54:55], v[48:49], s[28:29]
	s_mov_b32 s11, s3
	v_mov_b32_e32 v67, v71
	v_mov_b32_e32 v65, v47
	v_pk_fma_f32 v[50:51], v[18:19], s[6:7], v[50:51] neg_lo:[0,0,1] neg_hi:[0,0,1]
	s_mov_b32 s8, s17
	s_mov_b32 s9, s14
	v_pk_add_f32 v[60:61], v[60:61], v[66:67]
	v_pk_fma_f32 v[66:67], v[34:35], s[10:11], v[54:55] op_sel:[1,0,0] neg_lo:[1,0,0] neg_hi:[1,0,0]
	v_pk_fma_f32 v[72:73], v[22:23], s[10:11], v[54:55]
	v_pk_add_f32 v[46:47], v[2:3], v[64:65]
	v_mov_b32_e32 v69, v51
	v_pk_fma_f32 v[50:51], v[20:21], s[30:31], v[52:53] neg_lo:[0,0,1] neg_hi:[0,0,1]
	v_pk_mul_f32 v[58:59], v[40:41], s[8:9]
	v_mov_b32_e32 v67, v73
	v_pk_add_f32 v[46:47], v[46:47], v[68:69]
	v_mov_b32_e32 v71, v51
	v_pk_fma_f32 v[50:51], v[22:23], s[10:11], v[54:55] neg_lo:[0,0,1] neg_hi:[0,0,1]
	v_pk_add_f32 v[60:61], v[60:61], v[66:67]
	v_pk_fma_f32 v[66:67], v[38:39], s[14:15], v[58:59] op_sel:[1,0,0] neg_lo:[1,0,0] neg_hi:[1,0,0]
	v_pk_fma_f32 v[74:75], v[24:25], s[14:15], v[58:59]
	v_pk_add_f32 v[46:47], v[46:47], v[70:71]
	v_mov_b32_e32 v73, v51
	v_pk_fma_f32 v[50:51], v[24:25], s[14:15], v[58:59] neg_lo:[0,0,1] neg_hi:[0,0,1]
	v_mov_b32_e32 v67, v75
	v_pk_add_f32 v[46:47], v[46:47], v[72:73]
	v_mov_b32_e32 v75, v51
	v_pk_add_f32 v[46:47], v[46:47], v[74:75]
	global_store_dwordx2 v[56:57], v[46:47], off
	v_pk_mul_f32 v[46:47], v[36:37], s[20:21]
	v_pk_mul_f32 v[50:51], v[42:43], s[26:27]
	v_pk_fma_f32 v[58:59], v[26:27], s[2:3], v[46:47] neg_lo:[1,0,0] neg_hi:[1,0,0]
	v_pk_fma_f32 v[64:65], v[16:17], s[2:3], v[46:47]
	v_pk_add_f32 v[60:61], v[60:61], v[66:67]
	v_mov_b32_e32 v59, v65
	v_pk_fma_f32 v[66:67], v[28:29], s[30:31], v[50:51] op_sel:[1,0,0] neg_lo:[1,0,0] neg_hi:[1,0,0]
	v_pk_fma_f32 v[68:69], v[18:19], s[30:31], v[50:51]
	v_pk_mul_f32 v[52:53], v[44:45], s[18:19]
	s_mov_b32 s0, s19
	v_pk_add_f32 v[58:59], v[2:3], v[58:59]
	v_mov_b32_e32 v67, v69
	v_pk_add_f32 v[58:59], v[58:59], v[66:67]
	v_pk_fma_f32 v[66:67], v[32:33], s[0:1], v[52:53] op_sel:[1,0,0] neg_lo:[1,0,0] neg_hi:[1,0,0]
	v_pk_fma_f32 v[70:71], v[20:21], s[0:1], v[52:53]
	v_pk_fma_f32 v[46:47], v[16:17], s[2:3], v[46:47] neg_lo:[0,0,1] neg_hi:[0,0,1]
	v_pk_mul_f32 v[54:55], v[48:49], s[4:5]
	v_mov_b32_e32 v67, v71
	v_mov_b32_e32 v65, v47
	v_pk_fma_f32 v[50:51], v[18:19], s[30:31], v[50:51] neg_lo:[0,0,1] neg_hi:[0,0,1]
	v_pk_add_f32 v[58:59], v[58:59], v[66:67]
	v_pk_fma_f32 v[66:67], v[34:35], s[16:17], v[54:55] op_sel:[1,0,0] neg_lo:[1,0,0] neg_hi:[1,0,0]
	v_pk_fma_f32 v[72:73], v[22:23], s[16:17], v[54:55]
	v_pk_add_f32 v[46:47], v[2:3], v[64:65]
	v_mov_b32_e32 v69, v51
	v_pk_fma_f32 v[50:51], v[20:21], s[0:1], v[52:53] neg_lo:[0,0,1] neg_hi:[0,0,1]
	v_pk_mul_f32 v[56:57], v[40:41], s[22:23]
	v_mov_b32_e32 v67, v73
	v_pk_add_f32 v[46:47], v[46:47], v[68:69]
	v_mov_b32_e32 v71, v51
	v_pk_fma_f32 v[50:51], v[22:23], s[16:17], v[54:55] neg_lo:[0,0,1] neg_hi:[0,0,1]
	v_pk_add_f32 v[58:59], v[58:59], v[66:67]
	v_pk_fma_f32 v[66:67], v[38:39], s[6:7], v[56:57] op_sel:[1,0,0] neg_lo:[1,0,0] neg_hi:[1,0,0]
	v_pk_fma_f32 v[74:75], v[24:25], s[6:7], v[56:57]
	v_pk_add_f32 v[46:47], v[46:47], v[70:71]
	v_mov_b32_e32 v73, v51
	v_pk_fma_f32 v[50:51], v[24:25], s[6:7], v[56:57] neg_lo:[0,0,1] neg_hi:[0,0,1]
	v_mov_b32_e32 v67, v75
	v_pk_add_f32 v[46:47], v[46:47], v[72:73]
	v_mov_b32_e32 v75, v51
	v_pk_add_f32 v[46:47], v[46:47], v[74:75]
	global_store_dwordx2 v[30:31], v[46:47], off
	v_pk_mul_f32 v[30:31], v[36:37], s[22:23]
	v_pk_mul_f32 v[46:47], v[42:43], s[28:29]
	v_pk_fma_f32 v[56:57], v[26:27], s[6:7], v[30:31] neg_lo:[1,0,0] neg_hi:[1,0,0]
	v_pk_fma_f32 v[64:65], v[16:17], s[6:7], v[30:31]
	v_pk_add_f32 v[58:59], v[58:59], v[66:67]
	v_mov_b32_e32 v57, v65
	v_pk_fma_f32 v[66:67], v[28:29], s[10:11], v[46:47] op_sel:[1,0,0] neg_lo:[1,0,0] neg_hi:[1,0,0]
	v_pk_fma_f32 v[68:69], v[18:19], s[10:11], v[46:47]
	v_pk_mul_f32 v[50:51], v[44:45], s[4:5]
	v_pk_add_f32 v[56:57], v[2:3], v[56:57]
	v_mov_b32_e32 v67, v69
	v_pk_add_f32 v[56:57], v[56:57], v[66:67]
	v_pk_fma_f32 v[66:67], v[32:33], s[16:17], v[50:51] op_sel:[1,0,0] neg_lo:[1,0,0] neg_hi:[1,0,0]
	v_pk_fma_f32 v[70:71], v[20:21], s[16:17], v[50:51]
	v_pk_fma_f32 v[30:31], v[16:17], s[6:7], v[30:31] neg_lo:[0,0,1] neg_hi:[0,0,1]
	v_pk_mul_f32 v[52:53], v[48:49], s[24:25]
	v_mov_b32_e32 v67, v71
	v_mov_b32_e32 v65, v31
	v_pk_fma_f32 v[46:47], v[18:19], s[10:11], v[46:47] neg_lo:[0,0,1] neg_hi:[0,0,1]
	v_pk_add_f32 v[56:57], v[56:57], v[66:67]
	v_pk_fma_f32 v[66:67], v[34:35], s[12:13], v[52:53] op_sel:[1,0,0] neg_lo:[1,0,0] neg_hi:[1,0,0]
	v_pk_fma_f32 v[72:73], v[22:23], s[12:13], v[52:53]
	v_pk_add_f32 v[30:31], v[2:3], v[64:65]
	v_mov_b32_e32 v69, v47
	v_pk_fma_f32 v[46:47], v[20:21], s[16:17], v[50:51] neg_lo:[0,0,1] neg_hi:[0,0,1]
	v_pk_mul_f32 v[54:55], v[40:41], s[18:19]
	v_mov_b32_e32 v67, v73
	v_pk_add_f32 v[30:31], v[30:31], v[68:69]
	v_mov_b32_e32 v71, v47
	v_pk_fma_f32 v[46:47], v[22:23], s[12:13], v[52:53] neg_lo:[0,0,1] neg_hi:[0,0,1]
	v_pk_add_f32 v[56:57], v[56:57], v[66:67]
	v_pk_fma_f32 v[66:67], v[38:39], s[0:1], v[54:55] op_sel:[1,0,0] neg_lo:[1,0,0] neg_hi:[1,0,0]
	v_pk_fma_f32 v[74:75], v[24:25], s[0:1], v[54:55]
	v_pk_add_f32 v[30:31], v[30:31], v[70:71]
	v_mov_b32_e32 v73, v47
	v_pk_fma_f32 v[46:47], v[24:25], s[0:1], v[54:55] neg_lo:[0,0,1] neg_hi:[0,0,1]
	v_mov_b32_e32 v67, v75
	v_pk_add_f32 v[30:31], v[30:31], v[72:73]
	v_mov_b32_e32 v75, v47
	v_pk_add_f32 v[30:31], v[30:31], v[74:75]
	global_store_dwordx2 v[14:15], v[30:31], off
	v_pk_mul_f32 v[14:15], v[36:37], s[24:25]
	v_pk_mul_f32 v[30:31], v[42:43], s[8:9]
	;; [unrolled: 1-line block ×3, first 2 shown]
	v_pk_fma_f32 v[26:27], v[26:27], s[12:13], v[14:15] neg_lo:[1,0,0] neg_hi:[1,0,0]
	v_pk_fma_f32 v[44:45], v[16:17], s[12:13], v[14:15]
	v_pk_fma_f32 v[28:29], v[28:29], s[14:15], v[30:31] op_sel:[1,0,0] neg_lo:[1,0,0] neg_hi:[1,0,0]
	v_mov_b32_e32 v27, v45
	v_pk_fma_f32 v[46:47], v[18:19], s[14:15], v[30:31]
	v_pk_add_f32 v[26:27], v[2:3], v[26:27]
	v_mov_b32_e32 v29, v47
	v_pk_add_f32 v[26:27], v[26:27], v[28:29]
	v_pk_fma_f32 v[28:29], v[32:33], s[6:7], v[36:37] op_sel:[1,0,0] neg_lo:[1,0,0] neg_hi:[1,0,0]
	v_pk_fma_f32 v[32:33], v[20:21], s[6:7], v[36:37]
	v_pk_fma_f32 v[14:15], v[16:17], s[12:13], v[14:15] neg_lo:[0,0,1] neg_hi:[0,0,1]
	v_pk_mul_f32 v[42:43], v[48:49], s[18:19]
	v_mov_b32_e32 v29, v33
	v_mov_b32_e32 v45, v15
	v_pk_fma_f32 v[14:15], v[18:19], s[14:15], v[30:31] neg_lo:[0,0,1] neg_hi:[0,0,1]
	v_pk_add_f32 v[26:27], v[26:27], v[28:29]
	v_pk_fma_f32 v[28:29], v[34:35], s[0:1], v[42:43] op_sel:[1,0,0] neg_lo:[1,0,0] neg_hi:[1,0,0]
	v_pk_fma_f32 v[34:35], v[22:23], s[0:1], v[42:43]
	v_pk_add_f32 v[2:3], v[2:3], v[44:45]
	v_mov_b32_e32 v47, v15
	v_pk_fma_f32 v[14:15], v[20:21], s[6:7], v[36:37] neg_lo:[0,0,1] neg_hi:[0,0,1]
	v_pk_mul_f32 v[40:41], v[40:41], s[20:21]
	v_mov_b32_e32 v29, v35
	v_pk_add_f32 v[2:3], v[2:3], v[46:47]
	v_mov_b32_e32 v33, v15
	v_pk_fma_f32 v[14:15], v[22:23], s[0:1], v[42:43] neg_lo:[0,0,1] neg_hi:[0,0,1]
	v_pk_add_f32 v[26:27], v[26:27], v[28:29]
	v_pk_fma_f32 v[28:29], v[38:39], s[2:3], v[40:41] op_sel:[1,0,0] neg_lo:[1,0,0] neg_hi:[1,0,0]
	v_pk_fma_f32 v[38:39], v[24:25], s[2:3], v[40:41]
	v_pk_add_f32 v[2:3], v[2:3], v[32:33]
	v_mov_b32_e32 v35, v15
	v_pk_fma_f32 v[14:15], v[24:25], s[2:3], v[40:41] neg_lo:[0,0,1] neg_hi:[0,0,1]
	v_mov_b32_e32 v29, v39
	v_pk_add_f32 v[2:3], v[2:3], v[34:35]
	v_mov_b32_e32 v39, v15
	v_pk_add_f32 v[2:3], v[2:3], v[38:39]
	v_pk_add_f32 v[56:57], v[56:57], v[66:67]
	;; [unrolled: 1-line block ×3, first 2 shown]
	global_store_dwordx2 v[4:5], v[2:3], off
	global_store_dwordx2 v[6:7], v[26:27], off
	global_store_dwordx2 v[8:9], v[56:57], off
	global_store_dwordx2 v[10:11], v[58:59], off
	global_store_dwordx2 v[12:13], v[60:61], off
	global_store_dwordx2 v[0:1], v[62:63], off
.LBB0_12:
	s_endpgm
	.section	.rodata,"a",@progbits
	.p2align	6, 0x0
	.amdhsa_kernel fft_rtc_back_len121_factors_11_11_wgs_121_tpt_11_halfLds_sp_ip_CI_sbrr_dirReg
		.amdhsa_group_segment_fixed_size 0
		.amdhsa_private_segment_fixed_size 0
		.amdhsa_kernarg_size 88
		.amdhsa_user_sgpr_count 2
		.amdhsa_user_sgpr_dispatch_ptr 0
		.amdhsa_user_sgpr_queue_ptr 0
		.amdhsa_user_sgpr_kernarg_segment_ptr 1
		.amdhsa_user_sgpr_dispatch_id 0
		.amdhsa_user_sgpr_kernarg_preload_length 0
		.amdhsa_user_sgpr_kernarg_preload_offset 0
		.amdhsa_user_sgpr_private_segment_size 0
		.amdhsa_uses_dynamic_stack 0
		.amdhsa_enable_private_segment 0
		.amdhsa_system_sgpr_workgroup_id_x 1
		.amdhsa_system_sgpr_workgroup_id_y 0
		.amdhsa_system_sgpr_workgroup_id_z 0
		.amdhsa_system_sgpr_workgroup_info 0
		.amdhsa_system_vgpr_workitem_id 0
		.amdhsa_next_free_vgpr 108
		.amdhsa_next_free_sgpr 52
		.amdhsa_accum_offset 108
		.amdhsa_reserve_vcc 1
		.amdhsa_float_round_mode_32 0
		.amdhsa_float_round_mode_16_64 0
		.amdhsa_float_denorm_mode_32 3
		.amdhsa_float_denorm_mode_16_64 3
		.amdhsa_dx10_clamp 1
		.amdhsa_ieee_mode 1
		.amdhsa_fp16_overflow 0
		.amdhsa_tg_split 0
		.amdhsa_exception_fp_ieee_invalid_op 0
		.amdhsa_exception_fp_denorm_src 0
		.amdhsa_exception_fp_ieee_div_zero 0
		.amdhsa_exception_fp_ieee_overflow 0
		.amdhsa_exception_fp_ieee_underflow 0
		.amdhsa_exception_fp_ieee_inexact 0
		.amdhsa_exception_int_div_zero 0
	.end_amdhsa_kernel
	.text
.Lfunc_end0:
	.size	fft_rtc_back_len121_factors_11_11_wgs_121_tpt_11_halfLds_sp_ip_CI_sbrr_dirReg, .Lfunc_end0-fft_rtc_back_len121_factors_11_11_wgs_121_tpt_11_halfLds_sp_ip_CI_sbrr_dirReg
                                        ; -- End function
	.section	.AMDGPU.csdata,"",@progbits
; Kernel info:
; codeLenInByte = 6456
; NumSgprs: 58
; NumVgprs: 108
; NumAgprs: 0
; TotalNumVgprs: 108
; ScratchSize: 0
; MemoryBound: 0
; FloatMode: 240
; IeeeMode: 1
; LDSByteSize: 0 bytes/workgroup (compile time only)
; SGPRBlocks: 7
; VGPRBlocks: 13
; NumSGPRsForWavesPerEU: 58
; NumVGPRsForWavesPerEU: 108
; AccumOffset: 108
; Occupancy: 4
; WaveLimiterHint : 1
; COMPUTE_PGM_RSRC2:SCRATCH_EN: 0
; COMPUTE_PGM_RSRC2:USER_SGPR: 2
; COMPUTE_PGM_RSRC2:TRAP_HANDLER: 0
; COMPUTE_PGM_RSRC2:TGID_X_EN: 1
; COMPUTE_PGM_RSRC2:TGID_Y_EN: 0
; COMPUTE_PGM_RSRC2:TGID_Z_EN: 0
; COMPUTE_PGM_RSRC2:TIDIG_COMP_CNT: 0
; COMPUTE_PGM_RSRC3_GFX90A:ACCUM_OFFSET: 26
; COMPUTE_PGM_RSRC3_GFX90A:TG_SPLIT: 0
	.text
	.p2alignl 6, 3212836864
	.fill 256, 4, 3212836864
	.type	__hip_cuid_ada1ca387b1c6b3e,@object ; @__hip_cuid_ada1ca387b1c6b3e
	.section	.bss,"aw",@nobits
	.globl	__hip_cuid_ada1ca387b1c6b3e
__hip_cuid_ada1ca387b1c6b3e:
	.byte	0                               ; 0x0
	.size	__hip_cuid_ada1ca387b1c6b3e, 1

	.ident	"AMD clang version 19.0.0git (https://github.com/RadeonOpenCompute/llvm-project roc-6.4.0 25133 c7fe45cf4b819c5991fe208aaa96edf142730f1d)"
	.section	".note.GNU-stack","",@progbits
	.addrsig
	.addrsig_sym __hip_cuid_ada1ca387b1c6b3e
	.amdgpu_metadata
---
amdhsa.kernels:
  - .agpr_count:     0
    .args:
      - .actual_access:  read_only
        .address_space:  global
        .offset:         0
        .size:           8
        .value_kind:     global_buffer
      - .offset:         8
        .size:           8
        .value_kind:     by_value
      - .actual_access:  read_only
        .address_space:  global
        .offset:         16
        .size:           8
        .value_kind:     global_buffer
      - .actual_access:  read_only
        .address_space:  global
        .offset:         24
        .size:           8
        .value_kind:     global_buffer
      - .offset:         32
        .size:           8
        .value_kind:     by_value
      - .actual_access:  read_only
        .address_space:  global
        .offset:         40
        .size:           8
        .value_kind:     global_buffer
      - .actual_access:  read_only
        .address_space:  global
        .offset:         48
        .size:           8
        .value_kind:     global_buffer
      - .offset:         56
        .size:           4
        .value_kind:     by_value
      - .actual_access:  read_only
        .address_space:  global
        .offset:         64
        .size:           8
        .value_kind:     global_buffer
      - .actual_access:  read_only
        .address_space:  global
        .offset:         72
        .size:           8
        .value_kind:     global_buffer
      - .address_space:  global
        .offset:         80
        .size:           8
        .value_kind:     global_buffer
    .group_segment_fixed_size: 0
    .kernarg_segment_align: 8
    .kernarg_segment_size: 88
    .language:       OpenCL C
    .language_version:
      - 2
      - 0
    .max_flat_workgroup_size: 121
    .name:           fft_rtc_back_len121_factors_11_11_wgs_121_tpt_11_halfLds_sp_ip_CI_sbrr_dirReg
    .private_segment_fixed_size: 0
    .sgpr_count:     58
    .sgpr_spill_count: 0
    .symbol:         fft_rtc_back_len121_factors_11_11_wgs_121_tpt_11_halfLds_sp_ip_CI_sbrr_dirReg.kd
    .uniform_work_group_size: 1
    .uses_dynamic_stack: false
    .vgpr_count:     108
    .vgpr_spill_count: 0
    .wavefront_size: 64
amdhsa.target:   amdgcn-amd-amdhsa--gfx950
amdhsa.version:
  - 1
  - 2
...

	.end_amdgpu_metadata
